;; amdgpu-corpus repo=ROCm/rocFFT kind=compiled arch=gfx950 opt=O3
	.text
	.amdgcn_target "amdgcn-amd-amdhsa--gfx950"
	.amdhsa_code_object_version 6
	.protected	fft_rtc_fwd_len484_factors_4_11_11_wgs_44_tpt_44_sp_ip_CI_unitstride_sbrr_dirReg ; -- Begin function fft_rtc_fwd_len484_factors_4_11_11_wgs_44_tpt_44_sp_ip_CI_unitstride_sbrr_dirReg
	.globl	fft_rtc_fwd_len484_factors_4_11_11_wgs_44_tpt_44_sp_ip_CI_unitstride_sbrr_dirReg
	.p2align	8
	.type	fft_rtc_fwd_len484_factors_4_11_11_wgs_44_tpt_44_sp_ip_CI_unitstride_sbrr_dirReg,@function
fft_rtc_fwd_len484_factors_4_11_11_wgs_44_tpt_44_sp_ip_CI_unitstride_sbrr_dirReg: ; @fft_rtc_fwd_len484_factors_4_11_11_wgs_44_tpt_44_sp_ip_CI_unitstride_sbrr_dirReg
; %bb.0:
	s_load_dwordx2 s[8:9], s[0:1], 0x50
	s_load_dwordx4 s[4:7], s[0:1], 0x0
	s_load_dwordx2 s[10:11], s[0:1], 0x18
	v_mul_u32_u24_e32 v1, 0x5d2, v0
	v_add_u32_sdwa v6, s2, v1 dst_sel:DWORD dst_unused:UNUSED_PAD src0_sel:DWORD src1_sel:WORD_1
	v_mov_b32_e32 v4, 0
	s_waitcnt lgkmcnt(0)
	v_cmp_lt_u64_e64 s[2:3], s[6:7], 2
	v_mov_b32_e32 v7, v4
	s_and_b64 vcc, exec, s[2:3]
	v_mov_b64_e32 v[2:3], 0
	s_cbranch_vccnz .LBB0_8
; %bb.1:
	s_load_dwordx2 s[2:3], s[0:1], 0x10
	s_add_u32 s12, s10, 8
	s_addc_u32 s13, s11, 0
	s_mov_b64 s[14:15], 1
	v_mov_b64_e32 v[2:3], 0
	s_waitcnt lgkmcnt(0)
	s_add_u32 s16, s2, 8
	s_addc_u32 s17, s3, 0
.LBB0_2:                                ; =>This Inner Loop Header: Depth=1
	s_load_dwordx2 s[18:19], s[16:17], 0x0
                                        ; implicit-def: $vgpr8_vgpr9
	s_waitcnt lgkmcnt(0)
	v_or_b32_e32 v5, s19, v7
	v_cmp_ne_u64_e32 vcc, 0, v[4:5]
	s_and_saveexec_b64 s[2:3], vcc
	s_xor_b64 s[20:21], exec, s[2:3]
	s_cbranch_execz .LBB0_4
; %bb.3:                                ;   in Loop: Header=BB0_2 Depth=1
	v_cvt_f32_u32_e32 v1, s18
	v_cvt_f32_u32_e32 v5, s19
	s_sub_u32 s2, 0, s18
	s_subb_u32 s3, 0, s19
	v_fmac_f32_e32 v1, 0x4f800000, v5
	v_rcp_f32_e32 v1, v1
	s_nop 0
	v_mul_f32_e32 v1, 0x5f7ffffc, v1
	v_mul_f32_e32 v5, 0x2f800000, v1
	v_trunc_f32_e32 v5, v5
	v_fmac_f32_e32 v1, 0xcf800000, v5
	v_cvt_u32_f32_e32 v5, v5
	v_cvt_u32_f32_e32 v1, v1
	v_mul_lo_u32 v8, s2, v5
	v_mul_hi_u32 v10, s2, v1
	v_mul_lo_u32 v9, s3, v1
	v_add_u32_e32 v10, v10, v8
	v_mul_lo_u32 v12, s2, v1
	v_add_u32_e32 v13, v10, v9
	v_mul_hi_u32 v8, v1, v12
	v_mul_hi_u32 v11, v1, v13
	v_mul_lo_u32 v10, v1, v13
	v_mov_b32_e32 v9, v4
	v_lshl_add_u64 v[8:9], v[8:9], 0, v[10:11]
	v_mul_hi_u32 v11, v5, v12
	v_mul_lo_u32 v12, v5, v12
	v_add_co_u32_e32 v8, vcc, v8, v12
	v_mul_hi_u32 v10, v5, v13
	s_nop 0
	v_addc_co_u32_e32 v8, vcc, v9, v11, vcc
	v_mov_b32_e32 v9, v4
	s_nop 0
	v_addc_co_u32_e32 v11, vcc, 0, v10, vcc
	v_mul_lo_u32 v10, v5, v13
	v_lshl_add_u64 v[8:9], v[8:9], 0, v[10:11]
	v_add_co_u32_e32 v1, vcc, v1, v8
	v_mul_lo_u32 v10, s2, v1
	s_nop 0
	v_addc_co_u32_e32 v5, vcc, v5, v9, vcc
	v_mul_lo_u32 v8, s2, v5
	v_mul_hi_u32 v9, s2, v1
	v_add_u32_e32 v8, v9, v8
	v_mul_lo_u32 v9, s3, v1
	v_add_u32_e32 v12, v8, v9
	v_mul_hi_u32 v14, v5, v10
	v_mul_lo_u32 v15, v5, v10
	v_mul_hi_u32 v9, v1, v12
	v_mul_lo_u32 v8, v1, v12
	v_mul_hi_u32 v10, v1, v10
	v_mov_b32_e32 v11, v4
	v_lshl_add_u64 v[8:9], v[10:11], 0, v[8:9]
	v_add_co_u32_e32 v8, vcc, v8, v15
	v_mul_hi_u32 v13, v5, v12
	s_nop 0
	v_addc_co_u32_e32 v8, vcc, v9, v14, vcc
	v_mul_lo_u32 v10, v5, v12
	s_nop 0
	v_addc_co_u32_e32 v11, vcc, 0, v13, vcc
	v_mov_b32_e32 v9, v4
	v_lshl_add_u64 v[8:9], v[8:9], 0, v[10:11]
	v_add_co_u32_e32 v1, vcc, v1, v8
	v_mul_hi_u32 v10, v6, v1
	s_nop 0
	v_addc_co_u32_e32 v5, vcc, v5, v9, vcc
	v_mad_u64_u32 v[8:9], s[2:3], v6, v5, 0
	v_mov_b32_e32 v11, v4
	v_lshl_add_u64 v[8:9], v[10:11], 0, v[8:9]
	v_mad_u64_u32 v[12:13], s[2:3], v7, v1, 0
	v_add_co_u32_e32 v1, vcc, v8, v12
	v_mad_u64_u32 v[10:11], s[2:3], v7, v5, 0
	s_nop 0
	v_addc_co_u32_e32 v8, vcc, v9, v13, vcc
	v_mov_b32_e32 v9, v4
	s_nop 0
	v_addc_co_u32_e32 v11, vcc, 0, v11, vcc
	v_lshl_add_u64 v[8:9], v[8:9], 0, v[10:11]
	v_mul_lo_u32 v1, s19, v8
	v_mul_lo_u32 v5, s18, v9
	v_mad_u64_u32 v[10:11], s[2:3], s18, v8, 0
	v_add3_u32 v1, v11, v5, v1
	v_sub_u32_e32 v5, v7, v1
	v_mov_b32_e32 v11, s19
	v_sub_co_u32_e32 v14, vcc, v6, v10
	v_lshl_add_u64 v[12:13], v[8:9], 0, 1
	s_nop 0
	v_subb_co_u32_e64 v5, s[2:3], v5, v11, vcc
	v_subrev_co_u32_e64 v10, s[2:3], s18, v14
	v_subb_co_u32_e32 v1, vcc, v7, v1, vcc
	s_nop 0
	v_subbrev_co_u32_e64 v5, s[2:3], 0, v5, s[2:3]
	v_cmp_le_u32_e64 s[2:3], s19, v5
	v_cmp_le_u32_e32 vcc, s19, v1
	s_nop 0
	v_cndmask_b32_e64 v11, 0, -1, s[2:3]
	v_cmp_le_u32_e64 s[2:3], s18, v10
	s_nop 1
	v_cndmask_b32_e64 v10, 0, -1, s[2:3]
	v_cmp_eq_u32_e64 s[2:3], s19, v5
	s_nop 1
	v_cndmask_b32_e64 v5, v11, v10, s[2:3]
	v_lshl_add_u64 v[10:11], v[8:9], 0, 2
	v_cmp_ne_u32_e64 s[2:3], 0, v5
	s_nop 1
	v_cndmask_b32_e64 v5, v13, v11, s[2:3]
	v_cndmask_b32_e64 v11, 0, -1, vcc
	v_cmp_le_u32_e32 vcc, s18, v14
	s_nop 1
	v_cndmask_b32_e64 v13, 0, -1, vcc
	v_cmp_eq_u32_e32 vcc, s19, v1
	s_nop 1
	v_cndmask_b32_e32 v1, v11, v13, vcc
	v_cmp_ne_u32_e32 vcc, 0, v1
	v_cndmask_b32_e64 v1, v12, v10, s[2:3]
	s_nop 0
	v_cndmask_b32_e32 v9, v9, v5, vcc
	v_cndmask_b32_e32 v8, v8, v1, vcc
.LBB0_4:                                ;   in Loop: Header=BB0_2 Depth=1
	s_andn2_saveexec_b64 s[2:3], s[20:21]
	s_cbranch_execz .LBB0_6
; %bb.5:                                ;   in Loop: Header=BB0_2 Depth=1
	v_cvt_f32_u32_e32 v1, s18
	s_sub_i32 s20, 0, s18
	v_rcp_iflag_f32_e32 v1, v1
	s_nop 0
	v_mul_f32_e32 v1, 0x4f7ffffe, v1
	v_cvt_u32_f32_e32 v1, v1
	v_mul_lo_u32 v5, s20, v1
	v_mul_hi_u32 v5, v1, v5
	v_add_u32_e32 v1, v1, v5
	v_mul_hi_u32 v1, v6, v1
	v_mul_lo_u32 v5, v1, s18
	v_sub_u32_e32 v5, v6, v5
	v_add_u32_e32 v8, 1, v1
	v_subrev_u32_e32 v9, s18, v5
	v_cmp_le_u32_e32 vcc, s18, v5
	s_nop 1
	v_cndmask_b32_e32 v5, v5, v9, vcc
	v_cndmask_b32_e32 v1, v1, v8, vcc
	v_add_u32_e32 v8, 1, v1
	v_cmp_le_u32_e32 vcc, s18, v5
	v_mov_b32_e32 v9, v4
	s_nop 0
	v_cndmask_b32_e32 v8, v1, v8, vcc
.LBB0_6:                                ;   in Loop: Header=BB0_2 Depth=1
	s_or_b64 exec, exec, s[2:3]
	v_mad_u64_u32 v[10:11], s[2:3], v8, s18, 0
	s_load_dwordx2 s[2:3], s[12:13], 0x0
	v_mul_lo_u32 v1, v9, s18
	v_mul_lo_u32 v5, v8, s19
	v_add3_u32 v1, v11, v5, v1
	v_sub_co_u32_e32 v5, vcc, v6, v10
	s_add_u32 s14, s14, 1
	s_nop 0
	v_subb_co_u32_e32 v1, vcc, v7, v1, vcc
	s_addc_u32 s15, s15, 0
	s_waitcnt lgkmcnt(0)
	v_mul_lo_u32 v1, s2, v1
	v_mul_lo_u32 v6, s3, v5
	v_mad_u64_u32 v[2:3], s[2:3], s2, v5, v[2:3]
	s_add_u32 s12, s12, 8
	v_add3_u32 v3, v6, v3, v1
	s_addc_u32 s13, s13, 0
	v_mov_b64_e32 v[6:7], s[6:7]
	s_add_u32 s16, s16, 8
	v_cmp_ge_u64_e32 vcc, s[14:15], v[6:7]
	s_addc_u32 s17, s17, 0
	s_cbranch_vccnz .LBB0_9
; %bb.7:                                ;   in Loop: Header=BB0_2 Depth=1
	v_mov_b64_e32 v[6:7], v[8:9]
	s_branch .LBB0_2
.LBB0_8:
	v_mov_b64_e32 v[8:9], v[6:7]
.LBB0_9:
	s_lshl_b64 s[2:3], s[6:7], 3
	s_add_u32 s2, s10, s2
	s_addc_u32 s3, s11, s3
	s_load_dwordx2 s[6:7], s[2:3], 0x0
	s_load_dwordx2 s[10:11], s[0:1], 0x20
	s_mov_b32 s2, 0x5d1745e
                                        ; implicit-def: $vgpr22
	s_waitcnt lgkmcnt(0)
	v_mul_lo_u32 v1, s6, v9
	v_mul_lo_u32 v4, s7, v8
	v_mad_u64_u32 v[2:3], s[0:1], s6, v8, v[2:3]
	v_add3_u32 v3, v4, v3, v1
	v_mul_hi_u32 v1, v0, s2
	v_mul_u32_u24_e32 v1, 44, v1
	v_sub_u32_e32 v16, v0, v1
	v_cmp_gt_u64_e32 vcc, s[10:11], v[8:9]
	v_cmp_le_u64_e64 s[0:1], s[10:11], v[8:9]
	v_add_u32_e32 v20, 44, v16
	s_and_saveexec_b64 s[2:3], s[0:1]
	s_xor_b64 s[0:1], exec, s[2:3]
; %bb.10:
	v_add_u32_e32 v20, 44, v16
	v_add_u32_e32 v22, 0x58, v16
; %bb.11:
	s_or_saveexec_b64 s[0:1], s[0:1]
	v_lshl_add_u64 v[18:19], v[2:3], 3, s[8:9]
	v_lshl_add_u32 v32, v16, 3, 0
	s_xor_b64 exec, exec, s[0:1]
	s_cbranch_execz .LBB0_13
; %bb.12:
	v_mov_b32_e32 v17, 0
	v_lshl_add_u64 v[0:1], v[16:17], 3, v[18:19]
	global_load_dwordx2 v[2:3], v[0:1], off
	global_load_dwordx2 v[4:5], v[0:1], off offset:352
	global_load_dwordx2 v[6:7], v[0:1], off offset:704
	;; [unrolled: 1-line block ×10, first 2 shown]
	v_add_u32_e32 v22, 0x58, v16
	v_add_u32_e32 v0, 0x800, v32
	s_waitcnt vmcnt(9)
	ds_write2_b64 v32, v[2:3], v[4:5] offset1:44
	s_waitcnt vmcnt(7)
	ds_write2_b64 v32, v[6:7], v[8:9] offset0:88 offset1:132
	s_waitcnt vmcnt(5)
	ds_write2_b64 v32, v[10:11], v[12:13] offset0:176 offset1:220
	;; [unrolled: 2-line block ×4, first 2 shown]
	s_waitcnt vmcnt(0)
	ds_write_b64 v32, v[30:31] offset:3520
.LBB0_13:
	s_or_b64 exec, exec, s[0:1]
	s_waitcnt lgkmcnt(0)
	; wave barrier
	s_waitcnt lgkmcnt(0)
	ds_read2_b64 v[0:3], v32 offset0:88 offset1:121
	ds_read2_b64 v[4:7], v32 offset0:165 offset1:209
	ds_read2_b64 v[24:27], v32 offset1:44
	v_add_u32_e32 v8, 0x400, v32
	v_add_u32_e32 v17, 0x800, v32
	ds_read2_b64 v[28:31], v8 offset0:114 offset1:158
	ds_read2_b64 v[8:11], v17 offset0:74 offset1:107
	;; [unrolled: 1-line block ×3, first 2 shown]
	v_mad_u32_u24 v23, v16, 24, v32
	s_waitcnt lgkmcnt(0)
	v_pk_add_f32 v[28:29], v[24:25], v[28:29] neg_lo:[0,1] neg_hi:[0,1]
	v_pk_add_f32 v[10:11], v[2:3], v[10:11] neg_lo:[0,1] neg_hi:[0,1]
	v_pk_fma_f32 v[24:25], v[24:25], 2.0, v[28:29] op_sel_hi:[1,0,1] neg_lo:[0,0,1] neg_hi:[0,0,1]
	v_pk_fma_f32 v[2:3], v[2:3], 2.0, v[10:11] op_sel_hi:[1,0,1] neg_lo:[0,0,1] neg_hi:[0,0,1]
	v_pk_add_f32 v[34:35], v[28:29], v[10:11] op_sel:[0,1] op_sel_hi:[1,0] neg_lo:[0,1] neg_hi:[0,1]
	v_pk_add_f32 v[10:11], v[28:29], v[10:11] op_sel:[0,1] op_sel_hi:[1,0]
	v_pk_add_f32 v[2:3], v[24:25], v[2:3] neg_lo:[0,1] neg_hi:[0,1]
	v_mov_b32_e32 v35, v11
	v_pk_add_f32 v[30:31], v[26:27], v[30:31] neg_lo:[0,1] neg_hi:[0,1]
	v_pk_add_f32 v[12:13], v[4:5], v[12:13] neg_lo:[0,1] neg_hi:[0,1]
	v_pk_fma_f32 v[24:25], v[24:25], 2.0, v[2:3] op_sel_hi:[1,0,1] neg_lo:[0,0,1] neg_hi:[0,0,1]
	v_pk_fma_f32 v[28:29], v[28:29], 2.0, v[34:35] op_sel_hi:[1,0,1] neg_lo:[0,0,1] neg_hi:[0,0,1]
	;; [unrolled: 1-line block ×4, first 2 shown]
	; wave barrier
	ds_write2_b64 v23, v[24:25], v[28:29] offset1:1
	ds_write2_b64 v23, v[2:3], v[34:35] offset0:2 offset1:3
	v_pk_add_f32 v[2:3], v[30:31], v[12:13] op_sel:[0,1] op_sel_hi:[1,0] neg_lo:[0,1] neg_hi:[0,1]
	v_pk_add_f32 v[10:11], v[30:31], v[12:13] op_sel:[0,1] op_sel_hi:[1,0]
	v_pk_add_f32 v[4:5], v[26:27], v[4:5] neg_lo:[0,1] neg_hi:[0,1]
	v_mov_b32_e32 v3, v11
	v_lshl_add_u32 v21, v20, 5, 0
	v_pk_fma_f32 v[26:27], v[26:27], 2.0, v[4:5] op_sel_hi:[1,0,1] neg_lo:[0,0,1] neg_hi:[0,0,1]
	v_pk_fma_f32 v[12:13], v[30:31], 2.0, v[2:3] op_sel_hi:[1,0,1] neg_lo:[0,0,1] neg_hi:[0,0,1]
	v_cmp_gt_u32_e64 s[0:1], 33, v16
	ds_write2_b64 v21, v[26:27], v[12:13] offset1:1
	ds_write2_b64 v21, v[4:5], v[2:3] offset0:2 offset1:3
	s_and_saveexec_b64 s[2:3], s[0:1]
	s_cbranch_execz .LBB0_15
; %bb.14:
	v_pk_add_f32 v[2:3], v[0:1], v[8:9] neg_lo:[0,1] neg_hi:[0,1]
	v_pk_add_f32 v[4:5], v[6:7], v[14:15] neg_lo:[0,1] neg_hi:[0,1]
	v_pk_fma_f32 v[0:1], v[0:1], 2.0, v[2:3] op_sel_hi:[1,0,1] neg_lo:[0,0,1] neg_hi:[0,0,1]
	v_pk_fma_f32 v[6:7], v[6:7], 2.0, v[4:5] op_sel_hi:[1,0,1] neg_lo:[0,0,1] neg_hi:[0,0,1]
	v_pk_add_f32 v[8:9], v[2:3], v[4:5] op_sel:[0,1] op_sel_hi:[1,0] neg_lo:[0,1] neg_hi:[0,1]
	v_pk_add_f32 v[4:5], v[2:3], v[4:5] op_sel:[0,1] op_sel_hi:[1,0]
	v_pk_add_f32 v[6:7], v[0:1], v[6:7] neg_lo:[0,1] neg_hi:[0,1]
	v_mov_b32_e32 v9, v5
	v_lshl_add_u32 v10, v22, 5, 0
	v_pk_fma_f32 v[0:1], v[0:1], 2.0, v[6:7] op_sel_hi:[1,0,1] neg_lo:[0,0,1] neg_hi:[0,0,1]
	v_pk_fma_f32 v[2:3], v[2:3], 2.0, v[8:9] op_sel_hi:[1,0,1] neg_lo:[0,0,1] neg_hi:[0,0,1]
	ds_write2_b64 v10, v[0:1], v[2:3] offset1:1
	ds_write2_b64 v10, v[6:7], v[8:9] offset0:2 offset1:3
.LBB0_15:
	s_or_b64 exec, exec, s[2:3]
	v_and_b32_e32 v48, 3, v16
	v_mul_u32_u24_e32 v0, 10, v48
	v_lshlrev_b32_e32 v0, 3, v0
	s_waitcnt lgkmcnt(0)
	; wave barrier
	s_waitcnt lgkmcnt(0)
	global_load_dwordx4 v[4:7], v0, s[4:5]
	global_load_dwordx4 v[8:11], v0, s[4:5] offset:16
	global_load_dwordx4 v[12:15], v0, s[4:5] offset:32
	;; [unrolled: 1-line block ×4, first 2 shown]
	s_movk_i32 s2, 0xffe8
	v_lshl_add_u32 v33, v22, 3, 0
	v_lshrrev_b32_e32 v46, 2, v16
	ds_read2_b64 v[0:3], v32 offset1:132
	ds_read2_b64 v[34:37], v32 offset0:176 offset1:220
	ds_read2_b64 v[38:41], v17 offset0:8 offset1:52
	;; [unrolled: 1-line block ×3, first 2 shown]
	ds_read_b64 v[22:23], v32 offset:3520
	v_mad_i32_i24 v124, v20, s2, v21
	v_mul_u32_u24_e32 v49, 44, v46
	ds_read_b64 v[20:21], v33
	ds_read_b64 v[46:47], v124
	v_or_b32_e32 v48, v49, v48
	v_lshl_add_u32 v125, v48, 3, 0
	s_mov_b32 s0, 0xbf0a6770
	s_mov_b32 s1, 0x3f575c64
	;; [unrolled: 1-line block ×20, first 2 shown]
	s_waitcnt lgkmcnt(0)
	; wave barrier
	s_waitcnt lgkmcnt(0)
	s_mov_b32 s14, 0x3e903f40
	s_mov_b32 s38, s13
	;; [unrolled: 1-line block ×16, first 2 shown]
	s_waitcnt vmcnt(4)
	v_mul_f32_e32 v48, v5, v47
	v_mul_f32_e32 v49, v5, v46
	v_mov_b32_e32 v50, v7
	v_mov_b32_e32 v51, v6
	s_waitcnt vmcnt(3)
	v_pk_mul_f32 v[52:53], v[8:9], v[2:3] op_sel:[0,1]
	v_pk_mul_f32 v[54:55], v[10:11], v[34:35] op_sel:[0,1]
	s_waitcnt vmcnt(2)
	v_pk_mul_f32 v[56:57], v[12:13], v[36:37] op_sel:[0,1]
	s_waitcnt vmcnt(0)
	v_pk_mul_f32 v[64:65], v[44:45], v[28:29] op_sel:[0,1]
	v_mov_b32_e32 v66, v31
	v_fma_f32 v48, v4, v46, -v48
	v_fmac_f32_e32 v49, v4, v47
	v_pk_mul_f32 v[4:5], v[50:51], v[20:21] op_sel:[0,1]
	v_pk_fma_f32 v[46:47], v[8:9], v[2:3], v[52:53] op_sel:[0,0,1] op_sel_hi:[1,1,0] neg_lo:[0,0,1] neg_hi:[0,0,1]
	v_pk_fma_f32 v[2:3], v[8:9], v[2:3], v[52:53] op_sel:[0,0,1] op_sel_hi:[1,0,0]
	v_pk_fma_f32 v[8:9], v[10:11], v[34:35], v[54:55] op_sel:[0,0,1] op_sel_hi:[1,1,0] neg_lo:[0,0,1] neg_hi:[0,0,1]
	v_pk_fma_f32 v[10:11], v[10:11], v[34:35], v[54:55] op_sel:[0,0,1] op_sel_hi:[1,0,0]
	;; [unrolled: 2-line block ×4, first 2 shown]
	v_pk_mul_f32 v[44:45], v[22:23], v[66:67] op_sel_hi:[1,0]
	v_pk_fma_f32 v[54:55], v[6:7], v[20:21], v[4:5] neg_lo:[0,0,1] neg_hi:[0,0,1]
	v_pk_fma_f32 v[4:5], v[6:7], v[20:21], v[4:5] op_sel_hi:[1,0,1]
	v_mov_b32_e32 v35, v13
	v_pk_fma_f32 v[12:13], v[22:23], v[30:31], v[44:45] op_sel:[0,0,1] op_sel_hi:[1,0,0] neg_lo:[0,0,1] neg_hi:[0,0,1]
	v_pk_fma_f32 v[20:21], v[22:23], v[30:31], v[44:45] op_sel:[0,0,1] op_sel_hi:[1,0,0]
	v_pk_add_f32 v[22:23], v[48:49], v[0:1]
	v_mov_b32_e32 v55, v5
	v_mov_b32_e32 v58, v15
	;; [unrolled: 1-line block ×3, first 2 shown]
	v_pk_add_f32 v[4:5], v[22:23], v[54:55]
	v_pk_mul_f32 v[36:37], v[38:39], v[58:59] op_sel_hi:[1,0]
	v_mov_b32_e32 v9, v11
	v_pk_add_f32 v[4:5], v[4:5], v[46:47]
	v_pk_mul_f32 v[60:61], v[40:41], v[24:25] op_sel:[0,1]
	v_mov_b32_e32 v62, v27
	v_pk_fma_f32 v[6:7], v[38:39], v[14:15], v[36:37] op_sel:[0,0,1] op_sel_hi:[1,1,0] neg_lo:[0,0,1] neg_hi:[0,0,1]
	v_pk_fma_f32 v[14:15], v[38:39], v[14:15], v[36:37] op_sel:[0,0,1] op_sel_hi:[1,0,0]
	v_pk_add_f32 v[4:5], v[4:5], v[8:9]
	v_pk_fma_f32 v[50:51], v[40:41], v[24:25], v[60:61] op_sel:[0,0,1] op_sel_hi:[1,1,0] neg_lo:[0,0,1] neg_hi:[0,0,1]
	v_pk_fma_f32 v[24:25], v[40:41], v[24:25], v[60:61] op_sel:[0,0,1] op_sel_hi:[1,0,0]
	v_pk_mul_f32 v[40:41], v[42:43], v[62:63] op_sel_hi:[1,0]
	v_mov_b32_e32 v7, v15
	v_pk_add_f32 v[4:5], v[4:5], v[34:35]
	v_mov_b32_e32 v51, v25
	v_pk_fma_f32 v[10:11], v[42:43], v[26:27], v[40:41] op_sel:[0,0,1] op_sel_hi:[1,1,0] neg_lo:[0,0,1] neg_hi:[0,0,1]
	v_pk_fma_f32 v[2:3], v[42:43], v[26:27], v[40:41] op_sel:[0,0,1] op_sel_hi:[1,0,0]
	v_pk_add_f32 v[4:5], v[4:5], v[6:7]
	v_mov_b32_e32 v11, v3
	v_pk_add_f32 v[4:5], v[4:5], v[50:51]
	v_mov_b32_e32 v53, v29
	v_add_f32_e32 v36, v48, v12
	v_sub_f32_e32 v37, v48, v12
	v_pk_add_f32 v[4:5], v[4:5], v[10:11]
	v_mov_b32_e32 v13, v21
	v_add_f32_e32 v3, v49, v21
	v_sub_f32_e32 v2, v49, v21
	v_pk_add_f32 v[44:45], v[34:35], v[6:7]
	v_pk_add_f32 v[48:49], v[34:35], v[6:7] neg_lo:[0,1] neg_hi:[0,1]
	v_pk_add_f32 v[4:5], v[4:5], v[52:53]
	v_pk_mul_f32 v[6:7], v[36:37], s[10:11]
	v_pk_add_f32 v[38:39], v[8:9], v[50:51]
	v_pk_add_f32 v[26:27], v[8:9], v[50:51] neg_lo:[0,1] neg_hi:[0,1]
	v_pk_add_f32 v[34:35], v[4:5], v[12:13]
	v_pk_fma_f32 v[8:9], v[2:3], s[0:1], v[6:7] neg_lo:[1,0,0] neg_hi:[1,0,0]
	v_pk_fma_f32 v[4:5], v[2:3], s[0:1], v[6:7]
	v_pk_add_f32 v[40:41], v[54:55], v[52:53]
	v_pk_add_f32 v[14:15], v[54:55], v[52:53] neg_lo:[0,1] neg_hi:[0,1]
	v_mov_b32_e32 v9, v5
	v_pk_add_f32 v[22:23], v[8:9], v[0:1]
	v_mov_b32_e32 v9, v41
	v_mov_b32_e32 v41, v14
	;; [unrolled: 1-line block ×3, first 2 shown]
	v_pk_mul_f32 v[12:13], v[40:41], s[28:29]
	v_pk_add_f32 v[42:43], v[46:47], v[10:11]
	v_pk_add_f32 v[20:21], v[46:47], v[10:11] neg_lo:[0,1] neg_hi:[0,1]
	v_pk_fma_f32 v[14:15], v[8:9], s[2:3], v[12:13] neg_lo:[1,0,0] neg_hi:[1,0,0]
	v_pk_fma_f32 v[10:11], v[8:9], s[2:3], v[12:13]
	v_pk_mul_f32 v[54:55], v[40:41], s[22:23]
	v_mov_b32_e32 v15, v11
	v_pk_add_f32 v[24:25], v[14:15], v[22:23]
	v_mov_b32_e32 v15, v43
	v_mov_b32_e32 v43, v20
	v_mov_b32_e32 v14, v21
	v_pk_mul_f32 v[22:23], v[42:43], s[20:21]
	v_pk_fma_f32 v[56:57], v[8:9], s[8:9], v[54:55] neg_lo:[1,0,0] neg_hi:[1,0,0]
	v_pk_fma_f32 v[28:29], v[14:15], s[6:7], v[22:23] neg_lo:[1,0,0] neg_hi:[1,0,0]
	v_pk_fma_f32 v[20:21], v[14:15], s[6:7], v[22:23]
	v_pk_fma_f32 v[58:59], v[8:9], s[8:9], v[54:55]
	v_mov_b32_e32 v29, v21
	v_pk_add_f32 v[30:31], v[28:29], v[24:25]
	v_mov_b32_e32 v25, v39
	v_mov_b32_e32 v39, v26
	;; [unrolled: 1-line block ×3, first 2 shown]
	v_pk_mul_f32 v[28:29], v[38:39], s[22:23]
	v_mov_b32_e32 v57, v59
	v_pk_fma_f32 v[46:47], v[24:25], s[8:9], v[28:29] neg_lo:[1,0,0] neg_hi:[1,0,0]
	v_pk_fma_f32 v[26:27], v[24:25], s[8:9], v[28:29]
	v_pk_mul_f32 v[76:77], v[40:41], s[38:39]
	v_mov_b32_e32 v47, v27
	v_pk_add_f32 v[46:47], v[46:47], v[30:31]
	v_mov_b32_e32 v31, v45
	v_mov_b32_e32 v45, v48
	;; [unrolled: 1-line block ×3, first 2 shown]
	v_pk_mul_f32 v[48:49], v[44:45], s[26:27]
	v_pk_fma_f32 v[78:79], v[8:9], s[14:15], v[76:77] neg_lo:[1,0,0] neg_hi:[1,0,0]
	v_pk_fma_f32 v[50:51], v[30:31], s[12:13], v[48:49] neg_lo:[1,0,0] neg_hi:[1,0,0]
	v_pk_fma_f32 v[52:53], v[30:31], s[12:13], v[48:49]
	v_pk_fma_f32 v[80:81], v[8:9], s[14:15], v[76:77]
	v_mov_b32_e32 v51, v53
	v_pk_add_f32 v[46:47], v[50:51], v[46:47]
	ds_write2_b64 v125, v[34:35], v[46:47] offset1:4
	v_pk_mul_f32 v[34:35], v[36:37], s[28:29]
	v_mov_b32_e32 v79, v81
	v_pk_fma_f32 v[46:47], v[2:3], s[2:3], v[34:35] neg_lo:[1,0,0] neg_hi:[1,0,0]
	v_pk_fma_f32 v[50:51], v[2:3], s[2:3], v[34:35]
	v_pk_mul_f32 v[94:95], v[40:41], s[36:37]
	v_mov_b32_e32 v47, v51
	v_pk_add_f32 v[46:47], v[46:47], v[0:1]
	v_pk_fma_f32 v[96:97], v[8:9], s[16:17], v[94:95] neg_lo:[1,0,0] neg_hi:[1,0,0]
	v_pk_add_f32 v[46:47], v[56:57], v[46:47]
	v_pk_mul_f32 v[56:57], v[42:43], s[38:39]
	v_pk_fma_f32 v[98:99], v[8:9], s[16:17], v[94:95]
	v_pk_fma_f32 v[60:61], v[14:15], s[14:15], v[56:57] neg_lo:[1,0,0] neg_hi:[1,0,0]
	v_pk_fma_f32 v[62:63], v[14:15], s[14:15], v[56:57]
	v_mov_b32_e32 v97, v99
	v_mov_b32_e32 v61, v63
	v_pk_add_f32 v[46:47], v[60:61], v[46:47]
	v_pk_mul_f32 v[60:61], v[38:39], s[36:37]
	v_pk_mul_f32 v[40:41], v[40:41], s[30:31]
	v_pk_fma_f32 v[64:65], v[24:25], s[16:17], v[60:61] neg_lo:[1,0,0] neg_hi:[1,0,0]
	v_pk_fma_f32 v[66:67], v[24:25], s[16:17], v[60:61]
	v_pk_fma_f32 v[114:115], v[8:9], s[18:19], v[40:41] neg_lo:[1,0,0] neg_hi:[1,0,0]
	v_mov_b32_e32 v65, v67
	v_pk_add_f32 v[46:47], v[64:65], v[46:47]
	v_pk_mul_f32 v[64:65], v[44:45], s[30:31]
	v_pk_fma_f32 v[116:117], v[8:9], s[18:19], v[40:41]
	v_pk_fma_f32 v[68:69], v[30:31], s[18:19], v[64:65] neg_lo:[1,0,0] neg_hi:[1,0,0]
	v_pk_fma_f32 v[70:71], v[30:31], s[18:19], v[64:65]
	v_mov_b32_e32 v115, v117
	v_mov_b32_e32 v69, v71
	v_pk_add_f32 v[46:47], v[68:69], v[46:47]
	v_pk_mul_f32 v[68:69], v[36:37], s[20:21]
	v_pk_fma_f32 v[34:35], v[2:3], s[2:3], v[34:35] neg_lo:[0,0,1] neg_hi:[0,0,1]
	v_pk_fma_f32 v[72:73], v[2:3], s[6:7], v[68:69] neg_lo:[1,0,0] neg_hi:[1,0,0]
	v_pk_fma_f32 v[74:75], v[2:3], s[6:7], v[68:69]
	v_mov_b32_e32 v51, v35
	v_mov_b32_e32 v73, v75
	v_pk_add_f32 v[72:73], v[72:73], v[0:1]
	v_pk_fma_f32 v[34:35], v[8:9], s[8:9], v[54:55] neg_lo:[0,0,1] neg_hi:[0,0,1]
	v_pk_add_f32 v[72:73], v[78:79], v[72:73]
	v_pk_mul_f32 v[78:79], v[42:43], s[34:35]
	v_mov_b32_e32 v59, v35
	v_pk_fma_f32 v[82:83], v[14:15], s[24:25], v[78:79] neg_lo:[1,0,0] neg_hi:[1,0,0]
	v_pk_fma_f32 v[84:85], v[14:15], s[24:25], v[78:79]
	v_pk_add_f32 v[34:35], v[50:51], v[0:1]
	v_mov_b32_e32 v83, v85
	v_pk_add_f32 v[72:73], v[82:83], v[72:73]
	v_pk_mul_f32 v[82:83], v[38:39], s[10:11]
	v_pk_add_f32 v[34:35], v[58:59], v[34:35]
	v_pk_fma_f32 v[86:87], v[24:25], s[0:1], v[82:83] neg_lo:[1,0,0] neg_hi:[1,0,0]
	v_pk_fma_f32 v[88:89], v[24:25], s[0:1], v[82:83]
	s_nop 0
	v_mov_b32_e32 v87, v89
	v_pk_add_f32 v[72:73], v[86:87], v[72:73]
	v_pk_mul_f32 v[86:87], v[44:45], s[22:23]
	s_nop 0
	v_pk_fma_f32 v[90:91], v[30:31], s[8:9], v[86:87] neg_lo:[1,0,0] neg_hi:[1,0,0]
	v_pk_fma_f32 v[92:93], v[30:31], s[8:9], v[86:87]
	s_nop 0
	v_mov_b32_e32 v91, v93
	v_pk_add_f32 v[72:73], v[90:91], v[72:73]
	ds_write2_b64 v125, v[46:47], v[72:73] offset0:8 offset1:12
	v_pk_mul_f32 v[46:47], v[36:37], s[22:23]
	v_pk_mul_f32 v[36:37], v[36:37], s[26:27]
	v_pk_fma_f32 v[72:73], v[2:3], s[8:9], v[46:47] neg_lo:[1,0,0] neg_hi:[1,0,0]
	v_pk_fma_f32 v[90:91], v[2:3], s[8:9], v[46:47]
	v_pk_fma_f32 v[112:113], v[2:3], s[12:13], v[36:37]
	v_mov_b32_e32 v73, v91
	v_pk_add_f32 v[72:73], v[72:73], v[0:1]
	s_nop 0
	v_pk_add_f32 v[72:73], v[96:97], v[72:73]
	v_pk_mul_f32 v[96:97], v[42:43], s[10:11]
	v_pk_mul_f32 v[42:43], v[42:43], s[22:23]
	v_pk_fma_f32 v[100:101], v[14:15], s[0:1], v[96:97] neg_lo:[1,0,0] neg_hi:[1,0,0]
	v_pk_fma_f32 v[102:103], v[14:15], s[0:1], v[96:97]
	v_pk_fma_f32 v[118:119], v[14:15], s[8:9], v[42:43]
	v_mov_b32_e32 v101, v103
	v_pk_add_f32 v[72:73], v[100:101], v[72:73]
	v_pk_mul_f32 v[100:101], v[38:39], s[26:27]
	v_pk_mul_f32 v[38:39], v[38:39], s[34:35]
	v_pk_fma_f32 v[104:105], v[24:25], s[12:13], v[100:101] neg_lo:[1,0,0] neg_hi:[1,0,0]
	v_pk_fma_f32 v[106:107], v[24:25], s[12:13], v[100:101]
	v_pk_fma_f32 v[120:121], v[24:25], s[24:25], v[38:39]
	v_mov_b32_e32 v105, v107
	;; [unrolled: 7-line block ×3, first 2 shown]
	v_pk_add_f32 v[72:73], v[108:109], v[72:73]
	v_pk_fma_f32 v[108:109], v[2:3], s[12:13], v[36:37] neg_lo:[1,0,0] neg_hi:[1,0,0]
	v_pk_fma_f32 v[36:37], v[2:3], s[12:13], v[36:37] neg_lo:[0,0,1] neg_hi:[0,0,1]
	v_mov_b32_e32 v109, v113
	v_pk_add_f32 v[108:109], v[108:109], v[0:1]
	v_mov_b32_e32 v113, v37
	v_pk_add_f32 v[108:109], v[114:115], v[108:109]
	v_pk_fma_f32 v[114:115], v[14:15], s[8:9], v[42:43] neg_lo:[1,0,0] neg_hi:[1,0,0]
	v_pk_fma_f32 v[36:37], v[8:9], s[18:19], v[40:41] neg_lo:[0,0,1] neg_hi:[0,0,1]
	v_mov_b32_e32 v115, v119
	v_pk_add_f32 v[108:109], v[114:115], v[108:109]
	v_pk_fma_f32 v[114:115], v[24:25], s[24:25], v[38:39] neg_lo:[1,0,0] neg_hi:[1,0,0]
	v_pk_fma_f32 v[38:39], v[24:25], s[24:25], v[38:39] neg_lo:[0,0,1] neg_hi:[0,0,1]
	v_mov_b32_e32 v115, v121
	v_pk_add_f32 v[108:109], v[114:115], v[108:109]
	v_pk_fma_f32 v[114:115], v[30:31], s[6:7], v[44:45] neg_lo:[1,0,0] neg_hi:[1,0,0]
	v_mov_b32_e32 v121, v39
	v_pk_fma_f32 v[38:39], v[30:31], s[6:7], v[44:45] neg_lo:[0,0,1] neg_hi:[0,0,1]
	v_mov_b32_e32 v115, v123
	v_mov_b32_e32 v123, v39
	v_pk_fma_f32 v[38:39], v[2:3], s[8:9], v[46:47] neg_lo:[0,0,1] neg_hi:[0,0,1]
	v_pk_fma_f32 v[40:41], v[14:15], s[8:9], v[42:43] neg_lo:[0,0,1] neg_hi:[0,0,1]
	v_mov_b32_e32 v91, v39
	v_pk_fma_f32 v[38:39], v[8:9], s[16:17], v[94:95] neg_lo:[0,0,1] neg_hi:[0,0,1]
	v_mov_b32_e32 v117, v37
	v_pk_add_f32 v[36:37], v[112:113], v[0:1]
	v_mov_b32_e32 v119, v41
	v_mov_b32_e32 v99, v39
	v_pk_add_f32 v[38:39], v[90:91], v[0:1]
	v_pk_fma_f32 v[40:41], v[14:15], s[0:1], v[96:97] neg_lo:[0,0,1] neg_hi:[0,0,1]
	v_pk_add_f32 v[36:37], v[116:117], v[36:37]
	v_pk_add_f32 v[38:39], v[98:99], v[38:39]
	v_mov_b32_e32 v103, v41
	v_pk_fma_f32 v[40:41], v[24:25], s[12:13], v[100:101] neg_lo:[0,0,1] neg_hi:[0,0,1]
	v_pk_add_f32 v[36:37], v[118:119], v[36:37]
	v_pk_add_f32 v[38:39], v[102:103], v[38:39]
	v_mov_b32_e32 v107, v41
	;; [unrolled: 4-line block ×3, first 2 shown]
	v_pk_add_f32 v[36:37], v[122:123], v[36:37]
	v_pk_add_f32 v[38:39], v[110:111], v[38:39]
	ds_write2_b64 v125, v[36:37], v[38:39] offset0:24 offset1:28
	v_pk_fma_f32 v[36:37], v[2:3], s[6:7], v[68:69] neg_lo:[0,0,1] neg_hi:[0,0,1]
	v_pk_fma_f32 v[2:3], v[2:3], s[0:1], v[6:7] neg_lo:[0,0,1] neg_hi:[0,0,1]
	v_mov_b32_e32 v75, v37
	v_pk_fma_f32 v[36:37], v[8:9], s[14:15], v[76:77] neg_lo:[0,0,1] neg_hi:[0,0,1]
	v_pk_fma_f32 v[38:39], v[14:15], s[24:25], v[78:79] neg_lo:[0,0,1] neg_hi:[0,0,1]
	v_mov_b32_e32 v5, v3
	v_pk_fma_f32 v[2:3], v[8:9], s[2:3], v[12:13] neg_lo:[0,0,1] neg_hi:[0,0,1]
	v_mov_b32_e32 v81, v37
	v_pk_add_f32 v[36:37], v[74:75], v[0:1]
	v_mov_b32_e32 v85, v39
	v_pk_fma_f32 v[38:39], v[24:25], s[0:1], v[82:83] neg_lo:[0,0,1] neg_hi:[0,0,1]
	v_pk_add_f32 v[0:1], v[4:5], v[0:1]
	v_mov_b32_e32 v11, v3
	v_pk_fma_f32 v[2:3], v[14:15], s[6:7], v[22:23] neg_lo:[0,0,1] neg_hi:[0,0,1]
	v_mov_b32_e32 v89, v39
	v_pk_fma_f32 v[38:39], v[30:31], s[8:9], v[86:87] neg_lo:[0,0,1] neg_hi:[0,0,1]
	v_pk_add_f32 v[0:1], v[10:11], v[0:1]
	v_mov_b32_e32 v21, v3
	v_pk_fma_f32 v[2:3], v[24:25], s[8:9], v[28:29] neg_lo:[0,0,1] neg_hi:[0,0,1]
	;; [unrolled: 5-line block ×3, first 2 shown]
	v_pk_add_f32 v[36:37], v[80:81], v[36:37]
	v_mov_b32_e32 v63, v39
	v_pk_fma_f32 v[38:39], v[24:25], s[16:17], v[60:61] neg_lo:[0,0,1] neg_hi:[0,0,1]
	v_pk_add_f32 v[0:1], v[26:27], v[0:1]
	v_mov_b32_e32 v53, v3
	v_pk_add_f32 v[36:37], v[84:85], v[36:37]
	v_pk_add_f32 v[34:35], v[62:63], v[34:35]
	v_mov_b32_e32 v67, v39
	v_pk_fma_f32 v[38:39], v[30:31], s[18:19], v[64:65] neg_lo:[0,0,1] neg_hi:[0,0,1]
	v_pk_add_f32 v[0:1], v[52:53], v[0:1]
	v_pk_add_f32 v[36:37], v[88:89], v[36:37]
	;; [unrolled: 1-line block ×3, first 2 shown]
	v_mov_b32_e32 v71, v39
	ds_write_b64 v125, v[0:1] offset:320
	v_mul_u32_u24_e32 v0, 10, v16
	v_pk_add_f32 v[108:109], v[114:115], v[108:109]
	v_pk_add_f32 v[36:37], v[92:93], v[36:37]
	;; [unrolled: 1-line block ×3, first 2 shown]
	v_lshlrev_b32_e32 v0, 3, v0
	ds_write2_b64 v125, v[72:73], v[108:109] offset0:16 offset1:20
	ds_write2_b64 v125, v[36:37], v[34:35] offset0:32 offset1:36
	s_waitcnt lgkmcnt(0)
	; wave barrier
	s_waitcnt lgkmcnt(0)
	global_load_dwordx4 v[4:7], v0, s[4:5] offset:320
	global_load_dwordx4 v[8:11], v0, s[4:5] offset:336
	;; [unrolled: 1-line block ×5, first 2 shown]
	ds_read_b64 v[34:35], v124
	ds_read2_b64 v[0:3], v32 offset1:132
	ds_read_b64 v[42:43], v33
	ds_read2_b64 v[28:31], v32 offset0:176 offset1:220
	s_waitcnt vmcnt(4)
	v_mov_b32_e32 v46, v7
	v_mov_b32_e32 v47, v6
	s_waitcnt lgkmcnt(1)
	v_pk_mul_f32 v[46:47], v[46:47], v[42:43] op_sel:[0,1]
	v_mul_f32_e32 v33, v5, v35
	v_pk_fma_f32 v[48:49], v[6:7], v[42:43], v[46:47] neg_lo:[0,0,1] neg_hi:[0,0,1]
	v_pk_fma_f32 v[6:7], v[6:7], v[42:43], v[46:47] op_sel_hi:[1,0,1]
	v_mul_f32_e32 v45, v5, v34
	v_mov_b32_e32 v49, v7
	s_waitcnt vmcnt(3)
	v_pk_mul_f32 v[6:7], v[8:9], v[2:3] op_sel:[0,1]
	v_fma_f32 v44, v4, v34, -v33
	v_pk_fma_f32 v[42:43], v[8:9], v[2:3], v[6:7] op_sel:[0,0,1] op_sel_hi:[1,1,0] neg_lo:[0,0,1] neg_hi:[0,0,1]
	v_pk_fma_f32 v[2:3], v[8:9], v[2:3], v[6:7] op_sel:[0,0,1] op_sel_hi:[1,0,0]
	v_fmac_f32_e32 v45, v4, v35
	v_mov_b32_e32 v43, v3
	s_waitcnt lgkmcnt(0)
	v_pk_mul_f32 v[2:3], v[10:11], v[28:29] op_sel:[0,1]
	ds_read2_b64 v[34:37], v17 offset0:8 offset1:52
	ds_read2_b64 v[38:41], v17 offset0:96 offset1:140
	ds_read_b64 v[4:5], v32 offset:3520
	v_pk_fma_f32 v[6:7], v[10:11], v[28:29], v[2:3] op_sel:[0,0,1] op_sel_hi:[1,1,0] neg_lo:[0,0,1] neg_hi:[0,0,1]
	v_pk_fma_f32 v[2:3], v[10:11], v[28:29], v[2:3] op_sel:[0,0,1] op_sel_hi:[1,0,0]
	s_waitcnt lgkmcnt(0)
	v_mov_b32_e32 v7, v3
	s_waitcnt vmcnt(2)
	v_pk_mul_f32 v[2:3], v[12:13], v[30:31] op_sel:[0,1]
	; wave barrier
	s_nop 0
	v_pk_fma_f32 v[8:9], v[12:13], v[30:31], v[2:3] op_sel:[0,0,1] op_sel_hi:[1,1,0] neg_lo:[0,0,1] neg_hi:[0,0,1]
	v_pk_fma_f32 v[2:3], v[12:13], v[30:31], v[2:3] op_sel:[0,0,1] op_sel_hi:[1,0,0]
	s_nop 0
	v_mov_b32_e32 v2, v15
	v_mov_b32_e32 v9, v3
	v_pk_mul_f32 v[2:3], v[34:35], v[2:3] op_sel_hi:[1,0]
	s_nop 0
	v_pk_fma_f32 v[10:11], v[34:35], v[14:15], v[2:3] op_sel:[0,0,1] op_sel_hi:[1,1,0] neg_lo:[0,0,1] neg_hi:[0,0,1]
	v_pk_fma_f32 v[2:3], v[34:35], v[14:15], v[2:3] op_sel:[0,0,1] op_sel_hi:[1,0,0]
	s_nop 0
	v_mov_b32_e32 v11, v3
	s_waitcnt vmcnt(1)
	v_pk_mul_f32 v[2:3], v[36:37], v[20:21] op_sel:[0,1]
	s_nop 0
	v_pk_fma_f32 v[12:13], v[36:37], v[20:21], v[2:3] op_sel:[0,0,1] op_sel_hi:[1,1,0] neg_lo:[0,0,1] neg_hi:[0,0,1]
	v_pk_fma_f32 v[2:3], v[36:37], v[20:21], v[2:3] op_sel:[0,0,1] op_sel_hi:[1,0,0]
	s_nop 0
	v_mov_b32_e32 v2, v23
	v_mov_b32_e32 v13, v3
	v_pk_mul_f32 v[2:3], v[38:39], v[2:3] op_sel_hi:[1,0]
	v_pk_add_f32 v[28:29], v[6:7], v[12:13]
	v_pk_fma_f32 v[14:15], v[38:39], v[22:23], v[2:3] op_sel:[0,0,1] op_sel_hi:[1,1,0] neg_lo:[0,0,1] neg_hi:[0,0,1]
	v_pk_fma_f32 v[2:3], v[38:39], v[22:23], v[2:3] op_sel:[0,0,1] op_sel_hi:[1,0,0]
	s_nop 0
	v_mov_b32_e32 v15, v3
	s_waitcnt vmcnt(0)
	v_pk_mul_f32 v[2:3], v[40:41], v[24:25] op_sel:[0,1]
	s_nop 0
	v_pk_fma_f32 v[20:21], v[40:41], v[24:25], v[2:3] op_sel:[0,0,1] op_sel_hi:[1,1,0] neg_lo:[0,0,1] neg_hi:[0,0,1]
	v_pk_fma_f32 v[2:3], v[40:41], v[24:25], v[2:3] op_sel:[0,0,1] op_sel_hi:[1,0,0]
	s_nop 0
	v_mov_b32_e32 v2, v27
	v_mov_b32_e32 v21, v3
	v_pk_mul_f32 v[2:3], v[4:5], v[2:3] op_sel_hi:[1,0]
	s_nop 0
	v_pk_fma_f32 v[22:23], v[4:5], v[26:27], v[2:3] op_sel:[0,0,1] op_sel_hi:[1,0,0] neg_lo:[0,0,1] neg_hi:[0,0,1]
	v_pk_fma_f32 v[4:5], v[4:5], v[26:27], v[2:3] op_sel:[0,0,1] op_sel_hi:[1,0,0]
	v_pk_add_f32 v[2:3], v[44:45], v[0:1]
	v_mov_b32_e32 v23, v5
	v_pk_add_f32 v[2:3], v[2:3], v[48:49]
	v_add_f32_e32 v26, v44, v22
	v_pk_add_f32 v[2:3], v[2:3], v[42:43]
	v_sub_f32_e32 v27, v44, v22
	v_pk_add_f32 v[2:3], v[2:3], v[6:7]
	v_pk_add_f32 v[6:7], v[6:7], v[12:13] neg_lo:[0,1] neg_hi:[0,1]
	v_pk_add_f32 v[2:3], v[2:3], v[8:9]
	s_nop 0
	v_pk_add_f32 v[2:3], v[2:3], v[10:11]
	s_nop 0
	v_pk_add_f32 v[2:3], v[2:3], v[12:13]
	v_pk_add_f32 v[12:13], v[8:9], v[10:11]
	;; [unrolled: 1-line block ×3, first 2 shown]
	v_pk_add_f32 v[8:9], v[8:9], v[10:11] neg_lo:[0,1] neg_hi:[0,1]
	v_pk_add_f32 v[2:3], v[2:3], v[20:21]
	v_pk_mul_f32 v[10:11], v[26:27], s[10:11]
	v_pk_add_f32 v[24:25], v[2:3], v[22:23]
	v_add_f32_e32 v3, v45, v5
	v_sub_f32_e32 v2, v45, v5
	v_pk_add_f32 v[4:5], v[48:49], v[20:21]
	v_pk_add_f32 v[20:21], v[48:49], v[20:21] neg_lo:[0,1] neg_hi:[0,1]
	v_mov_b32_e32 v37, v5
	v_mov_b32_e32 v5, v20
	v_pk_fma_f32 v[30:31], v[2:3], s[0:1], v[10:11] neg_lo:[1,0,0] neg_hi:[1,0,0]
	v_pk_fma_f32 v[34:35], v[2:3], s[0:1], v[10:11]
	v_mov_b32_e32 v36, v21
	v_pk_mul_f32 v[20:21], v[4:5], s[28:29]
	v_mov_b32_e32 v31, v35
	v_pk_fma_f32 v[38:39], v[36:37], s[2:3], v[20:21] neg_lo:[1,0,0] neg_hi:[1,0,0]
	v_pk_fma_f32 v[40:41], v[36:37], s[2:3], v[20:21]
	v_pk_add_f32 v[22:23], v[42:43], v[14:15]
	v_pk_add_f32 v[14:15], v[42:43], v[14:15] neg_lo:[0,1] neg_hi:[0,1]
	v_pk_add_f32 v[30:31], v[30:31], v[0:1]
	v_mov_b32_e32 v39, v41
	v_pk_add_f32 v[30:31], v[38:39], v[30:31]
	v_mov_b32_e32 v39, v23
	v_mov_b32_e32 v23, v14
	;; [unrolled: 1-line block ×3, first 2 shown]
	v_pk_mul_f32 v[14:15], v[22:23], s[20:21]
	v_pk_mul_f32 v[54:55], v[4:5], s[22:23]
	v_pk_fma_f32 v[42:43], v[38:39], s[6:7], v[14:15] neg_lo:[1,0,0] neg_hi:[1,0,0]
	v_pk_fma_f32 v[44:45], v[38:39], s[6:7], v[14:15]
	v_pk_fma_f32 v[56:57], v[36:37], s[8:9], v[54:55] neg_lo:[1,0,0] neg_hi:[1,0,0]
	v_mov_b32_e32 v43, v45
	v_pk_add_f32 v[30:31], v[42:43], v[30:31]
	v_mov_b32_e32 v43, v29
	v_mov_b32_e32 v29, v6
	;; [unrolled: 1-line block ×3, first 2 shown]
	v_pk_mul_f32 v[6:7], v[28:29], s[22:23]
	v_pk_fma_f32 v[58:59], v[36:37], s[8:9], v[54:55]
	v_pk_fma_f32 v[46:47], v[42:43], s[8:9], v[6:7] neg_lo:[1,0,0] neg_hi:[1,0,0]
	v_pk_fma_f32 v[48:49], v[42:43], s[8:9], v[6:7]
	v_mov_b32_e32 v57, v59
	v_mov_b32_e32 v47, v49
	v_pk_add_f32 v[30:31], v[46:47], v[30:31]
	v_mov_b32_e32 v47, v13
	v_mov_b32_e32 v13, v8
	;; [unrolled: 1-line block ×3, first 2 shown]
	v_pk_mul_f32 v[8:9], v[12:13], s[26:27]
	v_pk_mul_f32 v[76:77], v[4:5], s[38:39]
	v_pk_fma_f32 v[50:51], v[46:47], s[12:13], v[8:9] neg_lo:[1,0,0] neg_hi:[1,0,0]
	v_pk_fma_f32 v[52:53], v[46:47], s[12:13], v[8:9]
	v_pk_fma_f32 v[78:79], v[36:37], s[14:15], v[76:77] neg_lo:[1,0,0] neg_hi:[1,0,0]
	v_mov_b32_e32 v51, v53
	v_pk_add_f32 v[30:31], v[50:51], v[30:31]
	ds_write2_b64 v32, v[24:25], v[30:31] offset1:44
	v_pk_mul_f32 v[24:25], v[26:27], s[28:29]
	v_pk_fma_f32 v[80:81], v[36:37], s[14:15], v[76:77]
	v_pk_fma_f32 v[30:31], v[2:3], s[2:3], v[24:25] neg_lo:[1,0,0] neg_hi:[1,0,0]
	v_pk_fma_f32 v[50:51], v[2:3], s[2:3], v[24:25]
	v_mov_b32_e32 v79, v81
	v_mov_b32_e32 v31, v51
	v_pk_add_f32 v[30:31], v[30:31], v[0:1]
	v_pk_mul_f32 v[94:95], v[4:5], s[36:37]
	v_pk_add_f32 v[30:31], v[56:57], v[30:31]
	v_pk_mul_f32 v[56:57], v[22:23], s[38:39]
	v_pk_fma_f32 v[96:97], v[36:37], s[16:17], v[94:95] neg_lo:[1,0,0] neg_hi:[1,0,0]
	v_pk_fma_f32 v[60:61], v[38:39], s[14:15], v[56:57] neg_lo:[1,0,0] neg_hi:[1,0,0]
	v_pk_fma_f32 v[62:63], v[38:39], s[14:15], v[56:57]
	v_pk_fma_f32 v[98:99], v[36:37], s[16:17], v[94:95]
	v_mov_b32_e32 v61, v63
	v_pk_add_f32 v[30:31], v[60:61], v[30:31]
	v_pk_mul_f32 v[60:61], v[28:29], s[36:37]
	v_mov_b32_e32 v97, v99
	v_pk_fma_f32 v[64:65], v[42:43], s[16:17], v[60:61] neg_lo:[1,0,0] neg_hi:[1,0,0]
	v_pk_fma_f32 v[66:67], v[42:43], s[16:17], v[60:61]
	v_pk_mul_f32 v[4:5], v[4:5], s[30:31]
	v_mov_b32_e32 v65, v67
	v_pk_add_f32 v[30:31], v[64:65], v[30:31]
	v_pk_mul_f32 v[64:65], v[12:13], s[30:31]
	v_pk_fma_f32 v[114:115], v[36:37], s[18:19], v[4:5] neg_lo:[1,0,0] neg_hi:[1,0,0]
	v_pk_fma_f32 v[68:69], v[46:47], s[18:19], v[64:65] neg_lo:[1,0,0] neg_hi:[1,0,0]
	v_pk_fma_f32 v[70:71], v[46:47], s[18:19], v[64:65]
	v_pk_fma_f32 v[116:117], v[36:37], s[18:19], v[4:5]
	v_mov_b32_e32 v69, v71
	v_pk_add_f32 v[30:31], v[68:69], v[30:31]
	v_pk_mul_f32 v[68:69], v[26:27], s[20:21]
	v_mov_b32_e32 v115, v117
	v_pk_fma_f32 v[72:73], v[2:3], s[6:7], v[68:69] neg_lo:[1,0,0] neg_hi:[1,0,0]
	v_pk_fma_f32 v[74:75], v[2:3], s[6:7], v[68:69]
	v_pk_fma_f32 v[4:5], v[36:37], s[18:19], v[4:5] neg_lo:[0,0,1] neg_hi:[0,0,1]
	v_mov_b32_e32 v73, v75
	v_pk_add_f32 v[72:73], v[72:73], v[0:1]
	v_mov_b32_e32 v117, v5
	v_pk_add_f32 v[72:73], v[78:79], v[72:73]
	v_pk_mul_f32 v[78:79], v[22:23], s[34:35]
	s_nop 0
	v_pk_fma_f32 v[82:83], v[38:39], s[24:25], v[78:79] neg_lo:[1,0,0] neg_hi:[1,0,0]
	v_pk_fma_f32 v[84:85], v[38:39], s[24:25], v[78:79]
	s_nop 0
	v_mov_b32_e32 v83, v85
	v_pk_add_f32 v[72:73], v[82:83], v[72:73]
	v_pk_mul_f32 v[82:83], v[28:29], s[10:11]
	s_nop 0
	v_pk_fma_f32 v[86:87], v[42:43], s[0:1], v[82:83] neg_lo:[1,0,0] neg_hi:[1,0,0]
	v_pk_fma_f32 v[88:89], v[42:43], s[0:1], v[82:83]
	s_nop 0
	;; [unrolled: 7-line block ×3, first 2 shown]
	v_mov_b32_e32 v91, v93
	v_pk_add_f32 v[72:73], v[90:91], v[72:73]
	ds_write2_b64 v32, v[30:31], v[72:73] offset0:88 offset1:132
	v_pk_mul_f32 v[30:31], v[26:27], s[22:23]
	v_pk_mul_f32 v[26:27], v[26:27], s[26:27]
	v_pk_fma_f32 v[72:73], v[2:3], s[8:9], v[30:31] neg_lo:[1,0,0] neg_hi:[1,0,0]
	v_pk_fma_f32 v[90:91], v[2:3], s[8:9], v[30:31]
	v_pk_fma_f32 v[112:113], v[2:3], s[12:13], v[26:27]
	v_mov_b32_e32 v73, v91
	v_pk_add_f32 v[72:73], v[72:73], v[0:1]
	s_nop 0
	v_pk_add_f32 v[72:73], v[96:97], v[72:73]
	v_pk_mul_f32 v[96:97], v[22:23], s[10:11]
	v_pk_mul_f32 v[22:23], v[22:23], s[22:23]
	v_pk_fma_f32 v[100:101], v[38:39], s[0:1], v[96:97] neg_lo:[1,0,0] neg_hi:[1,0,0]
	v_pk_fma_f32 v[102:103], v[38:39], s[0:1], v[96:97]
	v_pk_fma_f32 v[118:119], v[38:39], s[8:9], v[22:23]
	v_mov_b32_e32 v101, v103
	v_pk_add_f32 v[72:73], v[100:101], v[72:73]
	v_pk_mul_f32 v[100:101], v[28:29], s[26:27]
	v_pk_mul_f32 v[28:29], v[28:29], s[34:35]
	v_pk_fma_f32 v[104:105], v[42:43], s[12:13], v[100:101] neg_lo:[1,0,0] neg_hi:[1,0,0]
	v_pk_fma_f32 v[106:107], v[42:43], s[12:13], v[100:101]
	v_pk_fma_f32 v[120:121], v[42:43], s[24:25], v[28:29]
	v_mov_b32_e32 v105, v107
	;; [unrolled: 7-line block ×3, first 2 shown]
	v_pk_add_f32 v[72:73], v[108:109], v[72:73]
	v_pk_fma_f32 v[108:109], v[2:3], s[12:13], v[26:27] neg_lo:[1,0,0] neg_hi:[1,0,0]
	v_pk_fma_f32 v[26:27], v[2:3], s[12:13], v[26:27] neg_lo:[0,0,1] neg_hi:[0,0,1]
	v_mov_b32_e32 v109, v113
	v_pk_add_f32 v[108:109], v[108:109], v[0:1]
	v_mov_b32_e32 v113, v27
	v_pk_add_f32 v[108:109], v[114:115], v[108:109]
	v_pk_fma_f32 v[114:115], v[38:39], s[8:9], v[22:23] neg_lo:[1,0,0] neg_hi:[1,0,0]
	v_pk_fma_f32 v[22:23], v[38:39], s[8:9], v[22:23] neg_lo:[0,0,1] neg_hi:[0,0,1]
	v_mov_b32_e32 v115, v119
	v_pk_add_f32 v[108:109], v[114:115], v[108:109]
	v_pk_fma_f32 v[114:115], v[42:43], s[24:25], v[28:29] neg_lo:[1,0,0] neg_hi:[1,0,0]
	v_mov_b32_e32 v119, v23
	v_mov_b32_e32 v115, v121
	v_pk_add_f32 v[108:109], v[114:115], v[108:109]
	v_pk_fma_f32 v[114:115], v[46:47], s[6:7], v[12:13] neg_lo:[1,0,0] neg_hi:[1,0,0]
	v_pk_fma_f32 v[12:13], v[46:47], s[6:7], v[12:13] neg_lo:[0,0,1] neg_hi:[0,0,1]
	v_mov_b32_e32 v115, v123
	v_mov_b32_e32 v123, v13
	v_pk_fma_f32 v[12:13], v[2:3], s[8:9], v[30:31] neg_lo:[0,0,1] neg_hi:[0,0,1]
	v_pk_fma_f32 v[22:23], v[42:43], s[24:25], v[28:29] neg_lo:[0,0,1] neg_hi:[0,0,1]
	v_mov_b32_e32 v91, v13
	v_pk_fma_f32 v[12:13], v[36:37], s[16:17], v[94:95] neg_lo:[0,0,1] neg_hi:[0,0,1]
	v_pk_add_f32 v[4:5], v[112:113], v[0:1]
	v_mov_b32_e32 v121, v23
	v_mov_b32_e32 v99, v13
	v_pk_add_f32 v[12:13], v[90:91], v[0:1]
	v_pk_fma_f32 v[22:23], v[38:39], s[0:1], v[96:97] neg_lo:[0,0,1] neg_hi:[0,0,1]
	v_pk_add_f32 v[4:5], v[116:117], v[4:5]
	v_pk_add_f32 v[12:13], v[98:99], v[12:13]
	v_mov_b32_e32 v103, v23
	v_pk_fma_f32 v[22:23], v[42:43], s[12:13], v[100:101] neg_lo:[0,0,1] neg_hi:[0,0,1]
	v_pk_add_f32 v[4:5], v[118:119], v[4:5]
	v_pk_add_f32 v[12:13], v[102:103], v[12:13]
	v_mov_b32_e32 v107, v23
	;; [unrolled: 4-line block ×3, first 2 shown]
	v_pk_add_f32 v[4:5], v[122:123], v[4:5]
	v_pk_add_f32 v[12:13], v[110:111], v[12:13]
	ds_write2_b64 v17, v[4:5], v[12:13] offset0:8 offset1:52
	v_pk_fma_f32 v[12:13], v[38:39], s[24:25], v[78:79] neg_lo:[0,0,1] neg_hi:[0,0,1]
	v_pk_fma_f32 v[4:5], v[2:3], s[6:7], v[68:69] neg_lo:[0,0,1] neg_hi:[0,0,1]
	v_mov_b32_e32 v85, v13
	v_pk_fma_f32 v[12:13], v[42:43], s[0:1], v[82:83] neg_lo:[0,0,1] neg_hi:[0,0,1]
	v_mov_b32_e32 v75, v5
	v_mov_b32_e32 v89, v13
	v_pk_fma_f32 v[12:13], v[46:47], s[8:9], v[86:87] neg_lo:[0,0,1] neg_hi:[0,0,1]
	v_pk_fma_f32 v[4:5], v[36:37], s[14:15], v[76:77] neg_lo:[0,0,1] neg_hi:[0,0,1]
	v_mov_b32_e32 v93, v13
	v_pk_fma_f32 v[12:13], v[2:3], s[2:3], v[24:25] neg_lo:[0,0,1] neg_hi:[0,0,1]
	v_pk_fma_f32 v[2:3], v[2:3], s[0:1], v[10:11] neg_lo:[0,0,1] neg_hi:[0,0,1]
	v_mov_b32_e32 v51, v13
	v_pk_fma_f32 v[22:23], v[36:37], s[8:9], v[54:55] neg_lo:[0,0,1] neg_hi:[0,0,1]
	v_mov_b32_e32 v35, v3
	;; [unrolled: 2-line block ×3, first 2 shown]
	v_pk_add_f32 v[4:5], v[74:75], v[0:1]
	v_pk_add_f32 v[12:13], v[50:51], v[0:1]
	v_mov_b32_e32 v59, v23
	v_pk_fma_f32 v[22:23], v[38:39], s[14:15], v[56:57] neg_lo:[0,0,1] neg_hi:[0,0,1]
	v_pk_add_f32 v[0:1], v[34:35], v[0:1]
	v_mov_b32_e32 v41, v3
	v_pk_fma_f32 v[2:3], v[38:39], s[6:7], v[14:15] neg_lo:[0,0,1] neg_hi:[0,0,1]
	v_pk_add_f32 v[4:5], v[80:81], v[4:5]
	v_pk_add_f32 v[12:13], v[58:59], v[12:13]
	v_mov_b32_e32 v63, v23
	v_pk_fma_f32 v[22:23], v[42:43], s[16:17], v[60:61] neg_lo:[0,0,1] neg_hi:[0,0,1]
	v_pk_add_f32 v[0:1], v[40:41], v[0:1]
	v_mov_b32_e32 v45, v3
	v_pk_fma_f32 v[2:3], v[42:43], s[8:9], v[6:7] neg_lo:[0,0,1] neg_hi:[0,0,1]
	;; [unrolled: 7-line block ×3, first 2 shown]
	v_pk_add_f32 v[4:5], v[88:89], v[4:5]
	v_pk_add_f32 v[12:13], v[66:67], v[12:13]
	v_mov_b32_e32 v71, v23
	v_pk_add_f32 v[0:1], v[48:49], v[0:1]
	v_mov_b32_e32 v53, v3
	v_pk_add_f32 v[108:109], v[114:115], v[108:109]
	v_pk_add_f32 v[4:5], v[92:93], v[4:5]
	;; [unrolled: 1-line block ×4, first 2 shown]
	ds_write2_b64 v32, v[72:73], v[108:109] offset0:176 offset1:220
	ds_write2_b64 v17, v[4:5], v[12:13] offset0:96 offset1:140
	ds_write_b64 v32, v[0:1] offset:3520
	s_waitcnt lgkmcnt(0)
	; wave barrier
	s_waitcnt lgkmcnt(0)
	s_and_saveexec_b64 s[0:1], vcc
	s_cbranch_execz .LBB0_17
; %bb.16:
	ds_read2_b64 v[0:3], v32 offset1:44
	ds_read2_b64 v[4:7], v32 offset0:88 offset1:132
	v_mov_b32_e32 v17, 0
	v_lshl_add_u64 v[12:13], v[16:17], 3, v[18:19]
	v_add_u32_e32 v8, 0x800, v32
	s_waitcnt lgkmcnt(1)
	global_store_dwordx2 v[12:13], v[0:1], off
	global_store_dwordx2 v[12:13], v[2:3], off offset:352
	ds_read2_b64 v[0:3], v32 offset0:176 offset1:220
	s_waitcnt lgkmcnt(1)
	global_store_dwordx2 v[12:13], v[4:5], off offset:704
	global_store_dwordx2 v[12:13], v[6:7], off offset:1056
	ds_read2_b64 v[4:7], v8 offset0:8 offset1:52
	ds_read2_b64 v[8:11], v8 offset0:96 offset1:140
	s_waitcnt lgkmcnt(2)
	global_store_dwordx2 v[12:13], v[0:1], off offset:1408
	ds_read_b64 v[0:1], v32 offset:3520
	global_store_dwordx2 v[12:13], v[2:3], off offset:1760
	s_waitcnt lgkmcnt(2)
	global_store_dwordx2 v[12:13], v[4:5], off offset:2112
	global_store_dwordx2 v[12:13], v[6:7], off offset:2464
	s_waitcnt lgkmcnt(1)
	global_store_dwordx2 v[12:13], v[8:9], off offset:2816
	;; [unrolled: 3-line block ×3, first 2 shown]
.LBB0_17:
	s_endpgm
	.section	.rodata,"a",@progbits
	.p2align	6, 0x0
	.amdhsa_kernel fft_rtc_fwd_len484_factors_4_11_11_wgs_44_tpt_44_sp_ip_CI_unitstride_sbrr_dirReg
		.amdhsa_group_segment_fixed_size 0
		.amdhsa_private_segment_fixed_size 0
		.amdhsa_kernarg_size 88
		.amdhsa_user_sgpr_count 2
		.amdhsa_user_sgpr_dispatch_ptr 0
		.amdhsa_user_sgpr_queue_ptr 0
		.amdhsa_user_sgpr_kernarg_segment_ptr 1
		.amdhsa_user_sgpr_dispatch_id 0
		.amdhsa_user_sgpr_kernarg_preload_length 0
		.amdhsa_user_sgpr_kernarg_preload_offset 0
		.amdhsa_user_sgpr_private_segment_size 0
		.amdhsa_uses_dynamic_stack 0
		.amdhsa_enable_private_segment 0
		.amdhsa_system_sgpr_workgroup_id_x 1
		.amdhsa_system_sgpr_workgroup_id_y 0
		.amdhsa_system_sgpr_workgroup_id_z 0
		.amdhsa_system_sgpr_workgroup_info 0
		.amdhsa_system_vgpr_workitem_id 0
		.amdhsa_next_free_vgpr 126
		.amdhsa_next_free_sgpr 40
		.amdhsa_accum_offset 128
		.amdhsa_reserve_vcc 1
		.amdhsa_float_round_mode_32 0
		.amdhsa_float_round_mode_16_64 0
		.amdhsa_float_denorm_mode_32 3
		.amdhsa_float_denorm_mode_16_64 3
		.amdhsa_dx10_clamp 1
		.amdhsa_ieee_mode 1
		.amdhsa_fp16_overflow 0
		.amdhsa_tg_split 0
		.amdhsa_exception_fp_ieee_invalid_op 0
		.amdhsa_exception_fp_denorm_src 0
		.amdhsa_exception_fp_ieee_div_zero 0
		.amdhsa_exception_fp_ieee_overflow 0
		.amdhsa_exception_fp_ieee_underflow 0
		.amdhsa_exception_fp_ieee_inexact 0
		.amdhsa_exception_int_div_zero 0
	.end_amdhsa_kernel
	.text
.Lfunc_end0:
	.size	fft_rtc_fwd_len484_factors_4_11_11_wgs_44_tpt_44_sp_ip_CI_unitstride_sbrr_dirReg, .Lfunc_end0-fft_rtc_fwd_len484_factors_4_11_11_wgs_44_tpt_44_sp_ip_CI_unitstride_sbrr_dirReg
                                        ; -- End function
	.section	.AMDGPU.csdata,"",@progbits
; Kernel info:
; codeLenInByte = 6540
; NumSgprs: 46
; NumVgprs: 126
; NumAgprs: 0
; TotalNumVgprs: 126
; ScratchSize: 0
; MemoryBound: 0
; FloatMode: 240
; IeeeMode: 1
; LDSByteSize: 0 bytes/workgroup (compile time only)
; SGPRBlocks: 5
; VGPRBlocks: 15
; NumSGPRsForWavesPerEU: 46
; NumVGPRsForWavesPerEU: 126
; AccumOffset: 128
; Occupancy: 4
; WaveLimiterHint : 1
; COMPUTE_PGM_RSRC2:SCRATCH_EN: 0
; COMPUTE_PGM_RSRC2:USER_SGPR: 2
; COMPUTE_PGM_RSRC2:TRAP_HANDLER: 0
; COMPUTE_PGM_RSRC2:TGID_X_EN: 1
; COMPUTE_PGM_RSRC2:TGID_Y_EN: 0
; COMPUTE_PGM_RSRC2:TGID_Z_EN: 0
; COMPUTE_PGM_RSRC2:TIDIG_COMP_CNT: 0
; COMPUTE_PGM_RSRC3_GFX90A:ACCUM_OFFSET: 31
; COMPUTE_PGM_RSRC3_GFX90A:TG_SPLIT: 0
	.text
	.p2alignl 6, 3212836864
	.fill 256, 4, 3212836864
	.type	__hip_cuid_5f88b4f3ab2d19bc,@object ; @__hip_cuid_5f88b4f3ab2d19bc
	.section	.bss,"aw",@nobits
	.globl	__hip_cuid_5f88b4f3ab2d19bc
__hip_cuid_5f88b4f3ab2d19bc:
	.byte	0                               ; 0x0
	.size	__hip_cuid_5f88b4f3ab2d19bc, 1

	.ident	"AMD clang version 19.0.0git (https://github.com/RadeonOpenCompute/llvm-project roc-6.4.0 25133 c7fe45cf4b819c5991fe208aaa96edf142730f1d)"
	.section	".note.GNU-stack","",@progbits
	.addrsig
	.addrsig_sym __hip_cuid_5f88b4f3ab2d19bc
	.amdgpu_metadata
---
amdhsa.kernels:
  - .agpr_count:     0
    .args:
      - .actual_access:  read_only
        .address_space:  global
        .offset:         0
        .size:           8
        .value_kind:     global_buffer
      - .offset:         8
        .size:           8
        .value_kind:     by_value
      - .actual_access:  read_only
        .address_space:  global
        .offset:         16
        .size:           8
        .value_kind:     global_buffer
      - .actual_access:  read_only
        .address_space:  global
        .offset:         24
        .size:           8
        .value_kind:     global_buffer
      - .offset:         32
        .size:           8
        .value_kind:     by_value
      - .actual_access:  read_only
        .address_space:  global
        .offset:         40
        .size:           8
        .value_kind:     global_buffer
      - .actual_access:  read_only
        .address_space:  global
        .offset:         48
        .size:           8
        .value_kind:     global_buffer
      - .offset:         56
        .size:           4
        .value_kind:     by_value
      - .actual_access:  read_only
        .address_space:  global
        .offset:         64
        .size:           8
        .value_kind:     global_buffer
      - .actual_access:  read_only
        .address_space:  global
        .offset:         72
        .size:           8
        .value_kind:     global_buffer
      - .address_space:  global
        .offset:         80
        .size:           8
        .value_kind:     global_buffer
    .group_segment_fixed_size: 0
    .kernarg_segment_align: 8
    .kernarg_segment_size: 88
    .language:       OpenCL C
    .language_version:
      - 2
      - 0
    .max_flat_workgroup_size: 44
    .name:           fft_rtc_fwd_len484_factors_4_11_11_wgs_44_tpt_44_sp_ip_CI_unitstride_sbrr_dirReg
    .private_segment_fixed_size: 0
    .sgpr_count:     46
    .sgpr_spill_count: 0
    .symbol:         fft_rtc_fwd_len484_factors_4_11_11_wgs_44_tpt_44_sp_ip_CI_unitstride_sbrr_dirReg.kd
    .uniform_work_group_size: 1
    .uses_dynamic_stack: false
    .vgpr_count:     126
    .vgpr_spill_count: 0
    .wavefront_size: 64
amdhsa.target:   amdgcn-amd-amdhsa--gfx950
amdhsa.version:
  - 1
  - 2
...

	.end_amdgpu_metadata
